;; amdgpu-corpus repo=ROCm/rocFFT kind=compiled arch=gfx1201 opt=O3
	.text
	.amdgcn_target "amdgcn-amd-amdhsa--gfx1201"
	.amdhsa_code_object_version 6
	.protected	fft_rtc_back_len1080_factors_6_10_6_3_wgs_216_tpt_108_halfLds_dp_ip_CI_sbrr_dirReg ; -- Begin function fft_rtc_back_len1080_factors_6_10_6_3_wgs_216_tpt_108_halfLds_dp_ip_CI_sbrr_dirReg
	.globl	fft_rtc_back_len1080_factors_6_10_6_3_wgs_216_tpt_108_halfLds_dp_ip_CI_sbrr_dirReg
	.p2align	8
	.type	fft_rtc_back_len1080_factors_6_10_6_3_wgs_216_tpt_108_halfLds_dp_ip_CI_sbrr_dirReg,@function
fft_rtc_back_len1080_factors_6_10_6_3_wgs_216_tpt_108_halfLds_dp_ip_CI_sbrr_dirReg: ; @fft_rtc_back_len1080_factors_6_10_6_3_wgs_216_tpt_108_halfLds_dp_ip_CI_sbrr_dirReg
; %bb.0:
	s_clause 0x2
	s_load_b64 s[12:13], s[0:1], 0x18
	s_load_b128 s[4:7], s[0:1], 0x0
	s_load_b64 s[10:11], s[0:1], 0x50
	v_mul_u32_u24_e32 v1, 0x25f, v0
	v_mov_b32_e32 v3, 0
	s_delay_alu instid0(VALU_DEP_2) | instskip(SKIP_2) | instid1(VALU_DEP_4)
	v_lshrrev_b32_e32 v70, 16, v1
	v_mov_b32_e32 v1, 0
	v_mov_b32_e32 v2, 0
	;; [unrolled: 1-line block ×3, first 2 shown]
	s_delay_alu instid0(VALU_DEP_4) | instskip(SKIP_3) | instid1(VALU_DEP_1)
	v_lshl_add_u32 v5, ttmp9, 1, v70
	s_wait_kmcnt 0x0
	s_load_b64 s[8:9], s[12:13], 0x0
	v_cmp_lt_u64_e64 s2, s[6:7], 2
	s_and_b32 vcc_lo, exec_lo, s2
	s_cbranch_vccnz .LBB0_8
; %bb.1:
	s_load_b64 s[2:3], s[0:1], 0x10
	v_mov_b32_e32 v1, 0
	v_mov_b32_e32 v2, 0
	s_add_nc_u64 s[14:15], s[12:13], 8
	s_mov_b64 s[16:17], 1
	s_wait_kmcnt 0x0
	s_add_nc_u64 s[18:19], s[2:3], 8
	s_mov_b32 s3, 0
.LBB0_2:                                ; =>This Inner Loop Header: Depth=1
	s_load_b64 s[20:21], s[18:19], 0x0
                                        ; implicit-def: $vgpr7_vgpr8
	s_mov_b32 s2, exec_lo
	s_wait_kmcnt 0x0
	v_or_b32_e32 v4, s21, v6
	s_delay_alu instid0(VALU_DEP_1)
	v_cmpx_ne_u64_e32 0, v[3:4]
	s_wait_alu 0xfffe
	s_xor_b32 s22, exec_lo, s2
	s_cbranch_execz .LBB0_4
; %bb.3:                                ;   in Loop: Header=BB0_2 Depth=1
	s_cvt_f32_u32 s2, s20
	s_cvt_f32_u32 s23, s21
	s_sub_nc_u64 s[26:27], 0, s[20:21]
	s_wait_alu 0xfffe
	s_delay_alu instid0(SALU_CYCLE_1) | instskip(SKIP_1) | instid1(SALU_CYCLE_2)
	s_fmamk_f32 s2, s23, 0x4f800000, s2
	s_wait_alu 0xfffe
	v_s_rcp_f32 s2, s2
	s_delay_alu instid0(TRANS32_DEP_1) | instskip(SKIP_1) | instid1(SALU_CYCLE_2)
	s_mul_f32 s2, s2, 0x5f7ffffc
	s_wait_alu 0xfffe
	s_mul_f32 s23, s2, 0x2f800000
	s_wait_alu 0xfffe
	s_delay_alu instid0(SALU_CYCLE_2) | instskip(SKIP_1) | instid1(SALU_CYCLE_2)
	s_trunc_f32 s23, s23
	s_wait_alu 0xfffe
	s_fmamk_f32 s2, s23, 0xcf800000, s2
	s_cvt_u32_f32 s25, s23
	s_wait_alu 0xfffe
	s_delay_alu instid0(SALU_CYCLE_1) | instskip(SKIP_1) | instid1(SALU_CYCLE_2)
	s_cvt_u32_f32 s24, s2
	s_wait_alu 0xfffe
	s_mul_u64 s[28:29], s[26:27], s[24:25]
	s_wait_alu 0xfffe
	s_mul_hi_u32 s31, s24, s29
	s_mul_i32 s30, s24, s29
	s_mul_hi_u32 s2, s24, s28
	s_mul_i32 s33, s25, s28
	s_wait_alu 0xfffe
	s_add_nc_u64 s[30:31], s[2:3], s[30:31]
	s_mul_hi_u32 s23, s25, s28
	s_mul_hi_u32 s34, s25, s29
	s_add_co_u32 s2, s30, s33
	s_wait_alu 0xfffe
	s_add_co_ci_u32 s2, s31, s23
	s_mul_i32 s28, s25, s29
	s_add_co_ci_u32 s29, s34, 0
	s_wait_alu 0xfffe
	s_add_nc_u64 s[28:29], s[2:3], s[28:29]
	s_wait_alu 0xfffe
	v_add_co_u32 v4, s2, s24, s28
	s_delay_alu instid0(VALU_DEP_1) | instskip(SKIP_1) | instid1(VALU_DEP_1)
	s_cmp_lg_u32 s2, 0
	s_add_co_ci_u32 s25, s25, s29
	v_readfirstlane_b32 s24, v4
	s_wait_alu 0xfffe
	s_delay_alu instid0(VALU_DEP_1)
	s_mul_u64 s[26:27], s[26:27], s[24:25]
	s_wait_alu 0xfffe
	s_mul_hi_u32 s29, s24, s27
	s_mul_i32 s28, s24, s27
	s_mul_hi_u32 s2, s24, s26
	s_mul_i32 s30, s25, s26
	s_wait_alu 0xfffe
	s_add_nc_u64 s[28:29], s[2:3], s[28:29]
	s_mul_hi_u32 s23, s25, s26
	s_mul_hi_u32 s24, s25, s27
	s_wait_alu 0xfffe
	s_add_co_u32 s2, s28, s30
	s_add_co_ci_u32 s2, s29, s23
	s_mul_i32 s26, s25, s27
	s_add_co_ci_u32 s27, s24, 0
	s_wait_alu 0xfffe
	s_add_nc_u64 s[26:27], s[2:3], s[26:27]
	s_wait_alu 0xfffe
	v_add_co_u32 v4, s2, v4, s26
	s_delay_alu instid0(VALU_DEP_1) | instskip(SKIP_1) | instid1(VALU_DEP_1)
	s_cmp_lg_u32 s2, 0
	s_add_co_ci_u32 s2, s25, s27
	v_mul_hi_u32 v13, v5, v4
	s_wait_alu 0xfffe
	v_mad_co_u64_u32 v[7:8], null, v5, s2, 0
	v_mad_co_u64_u32 v[9:10], null, v6, v4, 0
	;; [unrolled: 1-line block ×3, first 2 shown]
	s_delay_alu instid0(VALU_DEP_3) | instskip(SKIP_1) | instid1(VALU_DEP_4)
	v_add_co_u32 v4, vcc_lo, v13, v7
	s_wait_alu 0xfffd
	v_add_co_ci_u32_e32 v7, vcc_lo, 0, v8, vcc_lo
	s_delay_alu instid0(VALU_DEP_2) | instskip(SKIP_1) | instid1(VALU_DEP_2)
	v_add_co_u32 v4, vcc_lo, v4, v9
	s_wait_alu 0xfffd
	v_add_co_ci_u32_e32 v4, vcc_lo, v7, v10, vcc_lo
	s_wait_alu 0xfffd
	v_add_co_ci_u32_e32 v7, vcc_lo, 0, v12, vcc_lo
	s_delay_alu instid0(VALU_DEP_2) | instskip(SKIP_1) | instid1(VALU_DEP_2)
	v_add_co_u32 v4, vcc_lo, v4, v11
	s_wait_alu 0xfffd
	v_add_co_ci_u32_e32 v9, vcc_lo, 0, v7, vcc_lo
	s_delay_alu instid0(VALU_DEP_2) | instskip(SKIP_1) | instid1(VALU_DEP_3)
	v_mul_lo_u32 v10, s21, v4
	v_mad_co_u64_u32 v[7:8], null, s20, v4, 0
	v_mul_lo_u32 v11, s20, v9
	s_delay_alu instid0(VALU_DEP_2) | instskip(NEXT) | instid1(VALU_DEP_2)
	v_sub_co_u32 v7, vcc_lo, v5, v7
	v_add3_u32 v8, v8, v11, v10
	s_delay_alu instid0(VALU_DEP_1) | instskip(SKIP_1) | instid1(VALU_DEP_1)
	v_sub_nc_u32_e32 v10, v6, v8
	s_wait_alu 0xfffd
	v_subrev_co_ci_u32_e64 v10, s2, s21, v10, vcc_lo
	v_add_co_u32 v11, s2, v4, 2
	s_wait_alu 0xf1ff
	v_add_co_ci_u32_e64 v12, s2, 0, v9, s2
	v_sub_co_u32 v13, s2, v7, s20
	v_sub_co_ci_u32_e32 v8, vcc_lo, v6, v8, vcc_lo
	s_wait_alu 0xf1ff
	v_subrev_co_ci_u32_e64 v10, s2, 0, v10, s2
	s_delay_alu instid0(VALU_DEP_3) | instskip(NEXT) | instid1(VALU_DEP_3)
	v_cmp_le_u32_e32 vcc_lo, s20, v13
	v_cmp_eq_u32_e64 s2, s21, v8
	s_wait_alu 0xfffd
	v_cndmask_b32_e64 v13, 0, -1, vcc_lo
	v_cmp_le_u32_e32 vcc_lo, s21, v10
	s_wait_alu 0xfffd
	v_cndmask_b32_e64 v14, 0, -1, vcc_lo
	v_cmp_le_u32_e32 vcc_lo, s20, v7
	;; [unrolled: 3-line block ×3, first 2 shown]
	s_wait_alu 0xfffd
	v_cndmask_b32_e64 v15, 0, -1, vcc_lo
	v_cmp_eq_u32_e32 vcc_lo, s21, v10
	s_wait_alu 0xf1ff
	s_delay_alu instid0(VALU_DEP_2)
	v_cndmask_b32_e64 v7, v15, v7, s2
	s_wait_alu 0xfffd
	v_cndmask_b32_e32 v10, v14, v13, vcc_lo
	v_add_co_u32 v13, vcc_lo, v4, 1
	s_wait_alu 0xfffd
	v_add_co_ci_u32_e32 v14, vcc_lo, 0, v9, vcc_lo
	s_delay_alu instid0(VALU_DEP_3) | instskip(SKIP_2) | instid1(VALU_DEP_3)
	v_cmp_ne_u32_e32 vcc_lo, 0, v10
	s_wait_alu 0xfffd
	v_cndmask_b32_e32 v10, v13, v11, vcc_lo
	v_cndmask_b32_e32 v8, v14, v12, vcc_lo
	v_cmp_ne_u32_e32 vcc_lo, 0, v7
	s_wait_alu 0xfffd
	s_delay_alu instid0(VALU_DEP_2)
	v_dual_cndmask_b32 v7, v4, v10 :: v_dual_cndmask_b32 v8, v9, v8
.LBB0_4:                                ;   in Loop: Header=BB0_2 Depth=1
	s_wait_alu 0xfffe
	s_and_not1_saveexec_b32 s2, s22
	s_cbranch_execz .LBB0_6
; %bb.5:                                ;   in Loop: Header=BB0_2 Depth=1
	v_cvt_f32_u32_e32 v4, s20
	s_sub_co_i32 s22, 0, s20
	s_delay_alu instid0(VALU_DEP_1) | instskip(NEXT) | instid1(TRANS32_DEP_1)
	v_rcp_iflag_f32_e32 v4, v4
	v_mul_f32_e32 v4, 0x4f7ffffe, v4
	s_delay_alu instid0(VALU_DEP_1) | instskip(SKIP_1) | instid1(VALU_DEP_1)
	v_cvt_u32_f32_e32 v4, v4
	s_wait_alu 0xfffe
	v_mul_lo_u32 v7, s22, v4
	s_delay_alu instid0(VALU_DEP_1) | instskip(NEXT) | instid1(VALU_DEP_1)
	v_mul_hi_u32 v7, v4, v7
	v_add_nc_u32_e32 v4, v4, v7
	s_delay_alu instid0(VALU_DEP_1) | instskip(NEXT) | instid1(VALU_DEP_1)
	v_mul_hi_u32 v4, v5, v4
	v_mul_lo_u32 v7, v4, s20
	v_add_nc_u32_e32 v8, 1, v4
	s_delay_alu instid0(VALU_DEP_2) | instskip(NEXT) | instid1(VALU_DEP_1)
	v_sub_nc_u32_e32 v7, v5, v7
	v_subrev_nc_u32_e32 v9, s20, v7
	v_cmp_le_u32_e32 vcc_lo, s20, v7
	s_wait_alu 0xfffd
	s_delay_alu instid0(VALU_DEP_2) | instskip(NEXT) | instid1(VALU_DEP_1)
	v_dual_cndmask_b32 v7, v7, v9 :: v_dual_cndmask_b32 v4, v4, v8
	v_cmp_le_u32_e32 vcc_lo, s20, v7
	s_delay_alu instid0(VALU_DEP_2) | instskip(SKIP_1) | instid1(VALU_DEP_1)
	v_add_nc_u32_e32 v8, 1, v4
	s_wait_alu 0xfffd
	v_dual_cndmask_b32 v7, v4, v8 :: v_dual_mov_b32 v8, v3
.LBB0_6:                                ;   in Loop: Header=BB0_2 Depth=1
	s_wait_alu 0xfffe
	s_or_b32 exec_lo, exec_lo, s2
	s_load_b64 s[22:23], s[14:15], 0x0
	s_delay_alu instid0(VALU_DEP_1)
	v_mul_lo_u32 v4, v8, s20
	v_mul_lo_u32 v11, v7, s21
	v_mad_co_u64_u32 v[9:10], null, v7, s20, 0
	s_add_nc_u64 s[16:17], s[16:17], 1
	s_add_nc_u64 s[14:15], s[14:15], 8
	s_wait_alu 0xfffe
	v_cmp_ge_u64_e64 s2, s[16:17], s[6:7]
	s_add_nc_u64 s[18:19], s[18:19], 8
	s_delay_alu instid0(VALU_DEP_2) | instskip(NEXT) | instid1(VALU_DEP_3)
	v_add3_u32 v4, v10, v11, v4
	v_sub_co_u32 v5, vcc_lo, v5, v9
	s_wait_alu 0xfffd
	s_delay_alu instid0(VALU_DEP_2) | instskip(SKIP_3) | instid1(VALU_DEP_2)
	v_sub_co_ci_u32_e32 v4, vcc_lo, v6, v4, vcc_lo
	s_and_b32 vcc_lo, exec_lo, s2
	s_wait_kmcnt 0x0
	v_mul_lo_u32 v6, s23, v5
	v_mul_lo_u32 v4, s22, v4
	v_mad_co_u64_u32 v[1:2], null, s22, v5, v[1:2]
	s_delay_alu instid0(VALU_DEP_1)
	v_add3_u32 v2, v6, v2, v4
	s_wait_alu 0xfffe
	s_cbranch_vccnz .LBB0_9
; %bb.7:                                ;   in Loop: Header=BB0_2 Depth=1
	v_dual_mov_b32 v5, v7 :: v_dual_mov_b32 v6, v8
	s_branch .LBB0_2
.LBB0_8:
	v_dual_mov_b32 v8, v6 :: v_dual_mov_b32 v7, v5
.LBB0_9:
	s_lshl_b64 s[2:3], s[6:7], 3
	v_mul_hi_u32 v3, 0x25ed098, v0
	s_wait_alu 0xfffe
	s_add_nc_u64 s[2:3], s[12:13], s[2:3]
                                        ; implicit-def: $vgpr50_vgpr51
                                        ; implicit-def: $vgpr42_vgpr43
                                        ; implicit-def: $vgpr38_vgpr39
                                        ; implicit-def: $vgpr46_vgpr47
                                        ; implicit-def: $vgpr30_vgpr31
                                        ; implicit-def: $vgpr34_vgpr35
                                        ; implicit-def: $vgpr10_vgpr11
                                        ; implicit-def: $vgpr18_vgpr19
                                        ; implicit-def: $vgpr26_vgpr27
                                        ; implicit-def: $vgpr22_vgpr23
                                        ; implicit-def: $vgpr14_vgpr15
	s_load_b64 s[2:3], s[2:3], 0x0
	s_load_b64 s[0:1], s[0:1], 0x20
	s_delay_alu instid0(VALU_DEP_1) | instskip(NEXT) | instid1(VALU_DEP_1)
	v_mul_u32_u24_e32 v3, 0x6c, v3
	v_sub_nc_u32_e32 v74, v0, v3
	s_delay_alu instid0(VALU_DEP_1)
	v_add_nc_u32_e32 v75, 0x168, v74
	v_add_nc_u32_e32 v76, 0x2d0, v74
	s_wait_kmcnt 0x0
	v_mul_lo_u32 v4, s2, v8
	v_mul_lo_u32 v5, s3, v7
	v_mad_co_u64_u32 v[1:2], null, s2, v7, v[1:2]
	v_cmp_gt_u64_e32 vcc_lo, s[0:1], v[7:8]
                                        ; implicit-def: $vgpr6_vgpr7
	s_delay_alu instid0(VALU_DEP_2) | instskip(NEXT) | instid1(VALU_DEP_1)
	v_add3_u32 v2, v5, v2, v4
	v_lshlrev_b64_e32 v[52:53], 4, v[1:2]
	s_and_saveexec_b32 s1, vcc_lo
	s_cbranch_execz .LBB0_13
; %bb.10:
	v_mad_co_u64_u32 v[2:3], null, s8, v74, 0
	v_add_nc_u32_e32 v10, 0xb4, v74
	v_mad_co_u64_u32 v[6:7], null, s8, v75, 0
	s_mov_b32 s2, exec_lo
                                        ; implicit-def: $vgpr32_vgpr33
                                        ; implicit-def: $vgpr44_vgpr45
                                        ; implicit-def: $vgpr36_vgpr37
                                        ; implicit-def: $vgpr40_vgpr41
                                        ; implicit-def: $vgpr48_vgpr49
	v_add_nc_u32_e32 v16, 0x384, v74
	s_delay_alu instid0(VALU_DEP_3) | instskip(SKIP_1) | instid1(VALU_DEP_1)
	v_mad_co_u64_u32 v[4:5], null, s8, v10, 0
	v_mov_b32_e32 v0, v3
	v_mad_co_u64_u32 v[0:1], null, s9, v74, v[0:1]
	s_delay_alu instid0(VALU_DEP_3) | instskip(SKIP_1) | instid1(VALU_DEP_3)
	v_dual_mov_b32 v1, v5 :: v_dual_add_nc_u32 v14, 0x21c, v74
	v_mov_b32_e32 v5, v7
	v_mov_b32_e32 v3, v0
	s_delay_alu instid0(VALU_DEP_3) | instskip(NEXT) | instid1(VALU_DEP_4)
	v_mad_co_u64_u32 v[8:9], null, s8, v14, 0
	v_mad_co_u64_u32 v[10:11], null, s9, v10, v[1:2]
	s_delay_alu instid0(VALU_DEP_4) | instskip(SKIP_1) | instid1(VALU_DEP_4)
	v_mad_co_u64_u32 v[11:12], null, s9, v75, v[5:6]
	v_mad_co_u64_u32 v[12:13], null, s8, v76, 0
	v_mov_b32_e32 v7, v9
	v_lshlrev_b64_e32 v[2:3], 4, v[2:3]
	v_mov_b32_e32 v5, v10
	v_add_co_u32 v0, s0, s10, v52
	s_delay_alu instid0(VALU_DEP_4)
	v_mad_co_u64_u32 v[9:10], null, s9, v14, v[7:8]
	v_mov_b32_e32 v10, v13
	v_mad_co_u64_u32 v[14:15], null, s8, v16, 0
	v_mov_b32_e32 v7, v11
	s_wait_alu 0xf1ff
	v_add_co_ci_u32_e64 v1, s0, s11, v53, s0
	v_mad_co_u64_u32 v[10:11], null, s9, v76, v[10:11]
	v_lshlrev_b64_e32 v[4:5], 4, v[4:5]
	v_mov_b32_e32 v11, v15
	v_add_co_u32 v2, s0, v0, v2
	v_lshlrev_b64_e32 v[6:7], 4, v[6:7]
	s_wait_alu 0xf1ff
	v_add_co_ci_u32_e64 v3, s0, v1, v3, s0
	v_mad_co_u64_u32 v[15:16], null, s9, v16, v[11:12]
	v_mov_b32_e32 v13, v10
	v_add_co_u32 v4, s0, v0, v4
	v_lshlrev_b64_e32 v[8:9], 4, v[8:9]
	s_wait_alu 0xf1ff
	v_add_co_ci_u32_e64 v5, s0, v1, v5, s0
	v_add_co_u32 v6, s0, v0, v6
	v_lshlrev_b64_e32 v[10:11], 4, v[12:13]
	s_wait_alu 0xf1ff
	v_add_co_ci_u32_e64 v7, s0, v1, v7, s0
	;; [unrolled: 4-line block ×3, first 2 shown]
	v_add_co_u32 v10, s0, v0, v10
	s_wait_alu 0xf1ff
	v_add_co_ci_u32_e64 v11, s0, v1, v11, s0
	v_add_co_u32 v28, s0, v0, v12
	s_wait_alu 0xf1ff
	v_add_co_ci_u32_e64 v29, s0, v1, v13, s0
	s_clause 0x5
	global_load_b128 v[12:15], v[2:3], off
	global_load_b128 v[20:23], v[4:5], off
	;; [unrolled: 1-line block ×6, first 2 shown]
                                        ; implicit-def: $vgpr28_vgpr29
	v_cmpx_gt_u32_e32 0x48, v74
	s_cbranch_execz .LBB0_12
; %bb.11:
	v_add_nc_u32_e32 v32, 0x6c, v74
	v_add_nc_u32_e32 v43, 0x33c, v74
	;; [unrolled: 1-line block ×3, first 2 shown]
	s_delay_alu instid0(VALU_DEP_3) | instskip(NEXT) | instid1(VALU_DEP_3)
	v_mad_co_u64_u32 v[2:3], null, s8, v32, 0
	v_mad_co_u64_u32 v[35:36], null, s8, v43, 0
	v_add_nc_u32_e32 v39, 0x120, v74
	s_delay_alu instid0(VALU_DEP_4) | instskip(SKIP_4) | instid1(VALU_DEP_3)
	v_mad_co_u64_u32 v[37:38], null, s8, v44, 0
	v_add_nc_u32_e32 v41, 0x1d4, v74
	s_wait_loadcnt 0x1
	v_mad_co_u64_u32 v[32:33], null, s9, v32, v[3:4]
	v_add_nc_u32_e32 v42, 0x288, v74
	v_mad_co_u64_u32 v[30:31], null, s8, v41, 0
	s_delay_alu instid0(VALU_DEP_3) | instskip(NEXT) | instid1(VALU_DEP_3)
	v_mov_b32_e32 v3, v32
	v_mad_co_u64_u32 v[33:34], null, s8, v42, 0
	v_mov_b32_e32 v32, v36
	v_mad_co_u64_u32 v[28:29], null, s8, v39, 0
	s_delay_alu instid0(VALU_DEP_4) | instskip(NEXT) | instid1(VALU_DEP_2)
	v_lshlrev_b64_e32 v[2:3], 4, v[2:3]
	v_mad_co_u64_u32 v[39:40], null, s9, v39, v[29:30]
	v_mov_b32_e32 v29, v34
	v_mad_co_u64_u32 v[40:41], null, s9, v41, v[31:32]
	s_delay_alu instid0(VALU_DEP_4) | instskip(NEXT) | instid1(VALU_DEP_3)
	v_add_co_u32 v2, s0, v0, v2
	v_mad_co_u64_u32 v[41:42], null, s9, v42, v[29:30]
	v_mov_b32_e32 v29, v39
	s_wait_alu 0xf1ff
	v_add_co_ci_u32_e64 v3, s0, v1, v3, s0
	v_mov_b32_e32 v31, v40
	s_delay_alu instid0(VALU_DEP_3) | instskip(SKIP_3) | instid1(VALU_DEP_4)
	v_lshlrev_b64_e32 v[28:29], 4, v[28:29]
	v_mov_b32_e32 v34, v41
	v_mad_co_u64_u32 v[39:40], null, s9, v43, v[32:33]
	v_mov_b32_e32 v32, v38
	v_add_co_u32 v28, s0, v0, v28
	s_wait_alu 0xf1ff
	v_add_co_ci_u32_e64 v29, s0, v1, v29, s0
	s_delay_alu instid0(VALU_DEP_4) | instskip(SKIP_3) | instid1(VALU_DEP_2)
	v_mov_b32_e32 v36, v39
	v_mad_co_u64_u32 v[40:41], null, s9, v44, v[32:33]
	v_lshlrev_b64_e32 v[30:31], 4, v[30:31]
	v_lshlrev_b64_e32 v[32:33], 4, v[33:34]
	v_add_co_u32 v41, s0, v0, v30
	s_delay_alu instid0(VALU_DEP_4) | instskip(SKIP_1) | instid1(VALU_DEP_4)
	v_mov_b32_e32 v38, v40
	s_wait_alu 0xf1ff
	v_add_co_ci_u32_e64 v42, s0, v1, v31, s0
	v_lshlrev_b64_e32 v[30:31], 4, v[35:36]
	v_add_co_u32 v39, s0, v0, v32
	s_wait_alu 0xf1ff
	v_add_co_ci_u32_e64 v40, s0, v1, v33, s0
	v_lshlrev_b64_e32 v[32:33], 4, v[37:38]
	s_delay_alu instid0(VALU_DEP_4) | instskip(SKIP_2) | instid1(VALU_DEP_3)
	v_add_co_u32 v48, s0, v0, v30
	s_wait_alu 0xf1ff
	v_add_co_ci_u32_e64 v49, s0, v1, v31, s0
	v_add_co_u32 v0, s0, v0, v32
	s_wait_alu 0xf1ff
	v_add_co_ci_u32_e64 v1, s0, v1, v33, s0
	s_clause 0x5
	global_load_b128 v[32:35], v[2:3], off
	global_load_b128 v[28:31], v[28:29], off
	;; [unrolled: 1-line block ×6, first 2 shown]
.LBB0_12:
	s_wait_alu 0xfffe
	s_or_b32 exec_lo, exec_lo, s2
.LBB0_13:
	s_wait_alu 0xfffe
	s_or_b32 exec_lo, exec_lo, s1
	s_wait_loadcnt 0x0
	v_add_f64_e32 v[0:1], v[10:11], v[18:19]
	v_add_f64_e32 v[2:3], v[50:51], v[38:39]
	;; [unrolled: 1-line block ×3, first 2 shown]
	v_add_f64_e64 v[58:59], v[16:17], -v[8:9]
	v_add_f64_e32 v[62:63], v[48:49], v[36:37]
	v_add_f64_e64 v[64:65], v[36:37], -v[48:49]
	s_mov_b32 s2, 0xe8584caa
	s_mov_b32 s3, 0xbfebb67a
	;; [unrolled: 1-line block ×3, first 2 shown]
	s_wait_alu 0xfffe
	s_mov_b32 s6, s2
	v_add_f64_e32 v[66:67], v[4:5], v[24:25]
	v_add_f64_e64 v[68:69], v[18:19], -v[10:11]
	v_add_f64_e32 v[71:72], v[40:41], v[44:45]
	v_add_f64_e64 v[79:80], v[38:39], -v[50:51]
	v_add_f64_e32 v[81:82], v[16:17], v[20:21]
	v_add_f64_e64 v[83:84], v[46:47], -v[42:43]
	v_and_b32_e32 v70, 1, v70
	s_delay_alu instid0(VALU_DEP_1)
	v_cmp_eq_u32_e64 s0, 1, v70
	v_fma_f64 v[0:1], v[0:1], -0.5, v[22:23]
	v_fma_f64 v[2:3], v[2:3], -0.5, v[30:31]
	;; [unrolled: 1-line block ×5, first 2 shown]
	v_add_f64_e32 v[81:82], v[8:9], v[81:82]
	s_wait_alu 0xfffe
	v_fma_f64 v[56:57], v[58:59], s[6:7], v[0:1]
	v_fma_f64 v[60:61], v[58:59], s[2:3], v[0:1]
	v_fma_f64 v[0:1], v[62:63], -0.5, v[28:29]
	v_fma_f64 v[54:55], v[64:65], s[6:7], v[2:3]
	v_fma_f64 v[58:59], v[64:65], s[2:3], v[2:3]
	v_add_f64_e32 v[2:3], v[24:25], v[12:13]
	v_add_f64_e64 v[64:65], v[26:27], -v[6:7]
	v_fma_f64 v[62:63], v[68:69], s[2:3], v[77:78]
	v_fma_f64 v[12:13], v[68:69], s[6:7], v[77:78]
	;; [unrolled: 1-line block ×3, first 2 shown]
	v_mul_f64_e32 v[68:69], s[2:3], v[56:57]
	v_mul_f64_e32 v[77:78], s[2:3], v[60:61]
	v_fma_f64 v[20:21], v[79:80], s[2:3], v[0:1]
	v_fma_f64 v[16:17], v[79:80], s[6:7], v[0:1]
	v_mul_f64_e32 v[0:1], s[2:3], v[54:55]
	v_mul_f64_e32 v[79:80], s[2:3], v[58:59]
	v_add_f64_e32 v[2:3], v[4:5], v[2:3]
	v_fma_f64 v[85:86], v[64:65], s[2:3], v[66:67]
	v_fma_f64 v[87:88], v[64:65], s[6:7], v[66:67]
	;; [unrolled: 1-line block ×3, first 2 shown]
	v_mul_u32_u24_e32 v71, 6, v74
	s_wait_alu 0xf1ff
	v_cndmask_b32_e64 v72, 0, 0x438, s0
	v_cmp_gt_u32_e64 s0, 0x48, v74
	s_delay_alu instid0(VALU_DEP_3) | instskip(NEXT) | instid1(VALU_DEP_1)
	v_lshl_add_u32 v71, v71, 3, 0
	v_lshl_add_u32 v70, v72, 3, v71
	v_fma_f64 v[89:90], v[62:63], 0.5, v[68:69]
	v_fma_f64 v[91:92], v[12:13], -0.5, v[77:78]
	v_fma_f64 v[64:65], v[20:21], 0.5, v[0:1]
	v_fma_f64 v[68:69], v[16:17], -0.5, v[79:80]
	v_add_f64_e32 v[77:78], v[81:82], v[2:3]
	v_add_f64_e64 v[83:84], v[2:3], -v[81:82]
	v_add_f64_e32 v[79:80], v[85:86], v[89:90]
	v_add_f64_e32 v[81:82], v[87:88], v[91:92]
	v_add_f64_e64 v[85:86], v[85:86], -v[89:90]
	v_add_f64_e64 v[87:88], v[87:88], -v[91:92]
	;; [unrolled: 1-line block ×4, first 2 shown]
	ds_store_b128 v70, v[77:80]
	ds_store_b128 v70, v[81:84] offset:16
	ds_store_b128 v70, v[85:88] offset:32
	s_and_saveexec_b32 s1, s0
	s_cbranch_execz .LBB0_15
; %bb.14:
	v_add_f64_e32 v[32:33], v[44:45], v[32:33]
	v_add_f64_e32 v[28:29], v[36:37], v[28:29]
	;; [unrolled: 1-line block ×4, first 2 shown]
	s_delay_alu instid0(VALU_DEP_4) | instskip(NEXT) | instid1(VALU_DEP_4)
	v_add_f64_e32 v[32:33], v[40:41], v[32:33]
	v_add_f64_e32 v[28:29], v[48:49], v[28:29]
	s_delay_alu instid0(VALU_DEP_1)
	v_add_f64_e32 v[77:78], v[28:29], v[32:33]
	v_add_f64_e64 v[68:69], v[32:33], -v[28:29]
	ds_store_b128 v70, v[77:80] offset:5184
	ds_store_b128 v70, v[66:69] offset:5200
	;; [unrolled: 1-line block ×3, first 2 shown]
.LBB0_15:
	s_wait_alu 0xfffe
	s_or_b32 exec_lo, exec_lo, s1
	v_add_f64_e32 v[8:9], v[6:7], v[26:27]
	v_add_f64_e32 v[28:29], v[42:43], v[46:47]
	;; [unrolled: 1-line block ×3, first 2 shown]
	v_add_f64_e64 v[4:5], v[24:25], -v[4:5]
	v_add_f64_e32 v[18:19], v[18:19], v[22:23]
	v_mul_f64_e32 v[22:23], s[6:7], v[62:63]
	v_mul_f64_e32 v[24:25], -0.5, v[60:61]
	v_mul_f64_e32 v[20:21], s[6:7], v[20:21]
	v_mul_f64_e32 v[32:33], -0.5, v[58:59]
	v_lshlrev_b32_e32 v80, 3, v72
	global_wb scope:SCOPE_SE
	s_wait_dscnt 0x0
	s_barrier_signal -1
	s_barrier_wait -1
	global_inv scope:SCOPE_SE
	v_add_nc_u32_e32 v77, 0x6c, v74
	v_fma_f64 v[8:9], v[8:9], -0.5, v[14:15]
	v_add_f64_e64 v[14:15], v[44:45], -v[40:41]
	v_fma_f64 v[44:45], v[28:29], -0.5, v[34:35]
	v_add_f64_e32 v[6:7], v[6:7], v[26:27]
	v_add_f64_e32 v[10:11], v[10:11], v[18:19]
	v_fma_f64 v[18:19], v[56:57], 0.5, v[22:23]
	v_fma_f64 v[12:13], v[12:13], s[6:7], v[24:25]
	v_fma_f64 v[36:37], v[54:55], 0.5, v[20:21]
	v_fma_f64 v[28:29], v[16:17], s[6:7], v[32:33]
	v_fma_f64 v[22:23], v[4:5], s[6:7], v[8:9]
	;; [unrolled: 1-line block ×5, first 2 shown]
	v_add_f64_e32 v[54:55], v[10:11], v[6:7]
	v_add_f64_e64 v[60:61], v[6:7], -v[10:11]
	v_mul_i32_i24_e32 v8, 0xffffffd8, v74
	v_lshlrev_b32_e32 v9, 3, v74
	s_delay_alu instid0(VALU_DEP_2) | instskip(NEXT) | instid1(VALU_DEP_2)
	v_add3_u32 v78, v71, v8, v80
	v_add3_u32 v79, 0, v80, v9
	s_delay_alu instid0(VALU_DEP_2)
	v_add_nc_u32_e32 v45, 0x800, v78
	v_add_nc_u32_e32 v44, 0x1000, v78
	;; [unrolled: 1-line block ×3, first 2 shown]
	ds_load_2addr_b64 v[8:11], v78 offset0:108 offset1:216
	v_add_f64_e32 v[56:57], v[22:23], v[18:19]
	v_add_f64_e32 v[58:59], v[4:5], v[12:13]
	v_add_f64_e64 v[64:65], v[4:5], -v[12:13]
	v_add_f64_e64 v[4:5], v[40:41], -v[36:37]
	;; [unrolled: 1-line block ×4, first 2 shown]
	ds_load_b64 v[24:25], v79
	ds_load_b64 v[26:27], v78 offset:7776
	ds_load_2addr_b64 v[12:15], v45 offset0:68 offset1:176
	ds_load_2addr_b64 v[16:19], v44 offset0:28 offset1:136
	;; [unrolled: 1-line block ×3, first 2 shown]
	global_wb scope:SCOPE_SE
	s_wait_dscnt 0x0
	s_barrier_signal -1
	s_barrier_wait -1
	global_inv scope:SCOPE_SE
	ds_store_b128 v70, v[54:57]
	ds_store_b128 v70, v[58:61] offset:16
	ds_store_b128 v70, v[62:65] offset:32
	s_and_saveexec_b32 s1, s0
	s_cbranch_execz .LBB0_17
; %bb.16:
	v_add_f64_e32 v[34:35], v[46:47], v[34:35]
	v_add_f64_e32 v[30:31], v[38:39], v[30:31]
	;; [unrolled: 1-line block ×3, first 2 shown]
	s_delay_alu instid0(VALU_DEP_3) | instskip(NEXT) | instid1(VALU_DEP_3)
	v_add_f64_e32 v[34:35], v[42:43], v[34:35]
	v_add_f64_e32 v[38:39], v[50:51], v[30:31]
	;; [unrolled: 1-line block ×3, first 2 shown]
	v_mul_u32_u24_e32 v36, 6, v77
	s_delay_alu instid0(VALU_DEP_1) | instskip(NEXT) | instid1(VALU_DEP_1)
	v_lshlrev_b32_e32 v36, 3, v36
	v_add3_u32 v36, 0, v36, v80
	v_add_f64_e32 v[28:29], v[38:39], v[34:35]
	v_add_f64_e64 v[34:35], v[34:35], -v[38:39]
	ds_store_b128 v36, v[28:31]
	ds_store_b128 v36, v[32:35] offset:16
	ds_store_b128 v36, v[4:7] offset:32
.LBB0_17:
	s_wait_alu 0xfffe
	s_or_b32 exec_lo, exec_lo, s1
	v_and_b32_e32 v28, 0xff, v74
	global_wb scope:SCOPE_SE
	s_wait_dscnt 0x0
	s_barrier_signal -1
	s_barrier_wait -1
	global_inv scope:SCOPE_SE
	v_mul_lo_u16 v28, 0xab, v28
	s_mov_b32 s12, 0x134454ff
	s_mov_b32 s13, 0xbfee6f0e
	;; [unrolled: 1-line block ×4, first 2 shown]
	v_lshrrev_b16 v40, 10, v28
	s_mov_b32 s14, 0x4755a5e
	s_mov_b32 s15, 0xbfe2cf23
	;; [unrolled: 1-line block ×4, first 2 shown]
	v_mul_lo_u16 v28, v40, 6
	s_mov_b32 s16, 0x372fe950
	s_mov_b32 s17, 0x3fd3c6ef
	;; [unrolled: 1-line block ×4, first 2 shown]
	v_sub_nc_u16 v28, v74, v28
	s_mov_b32 s21, 0xbfd3c6ef
	s_wait_alu 0xfffe
	s_mov_b32 s20, s16
	s_mov_b32 s23, 0xbfe9e377
	;; [unrolled: 1-line block ×3, first 2 shown]
	v_and_b32_e32 v41, 0xff, v28
	s_delay_alu instid0(VALU_DEP_1) | instskip(NEXT) | instid1(VALU_DEP_1)
	v_mul_u32_u24_e32 v28, 9, v41
	v_lshlrev_b32_e32 v28, 4, v28
	s_clause 0x8
	global_load_b128 v[54:57], v28, s[4:5] offset:128
	global_load_b128 v[58:61], v28, s[4:5] offset:64
	;; [unrolled: 1-line block ×4, first 2 shown]
	global_load_b128 v[70:73], v28, s[4:5]
	global_load_b128 v[81:84], v28, s[4:5] offset:16
	global_load_b128 v[85:88], v28, s[4:5] offset:48
	;; [unrolled: 1-line block ×4, first 2 shown]
	ds_load_b64 v[34:35], v78 offset:7776
	ds_load_2addr_b64 v[97:100], v45 offset0:68 offset1:176
	ds_load_2addr_b64 v[101:104], v44 offset0:28 offset1:136
	;; [unrolled: 1-line block ×3, first 2 shown]
	ds_load_b64 v[32:33], v79
	s_wait_loadcnt 0x8
	v_mul_f64_e32 v[28:29], v[26:27], v[56:57]
	s_wait_loadcnt 0x7
	v_mul_f64_e32 v[30:31], v[16:17], v[60:61]
	;; [unrolled: 2-line block ×4, first 2 shown]
	s_wait_dscnt 0x4
	v_mul_f64_e32 v[42:43], v[34:35], v[56:57]
	s_wait_dscnt 0x3
	v_mul_f64_e32 v[56:57], v[97:98], v[68:69]
	;; [unrolled: 2-line block ×4, first 2 shown]
	s_wait_loadcnt 0x4
	v_mul_f64_e32 v[68:69], v[8:9], v[72:73]
	s_wait_loadcnt 0x1
	v_mul_f64_e32 v[105:106], v[103:104], v[91:92]
	s_wait_loadcnt 0x0
	v_mul_f64_e32 v[107:108], v[50:51], v[95:96]
	v_fma_f64 v[28:29], v[34:35], v[54:55], -v[28:29]
	v_fma_f64 v[34:35], v[101:102], v[58:59], -v[30:31]
	;; [unrolled: 1-line block ×4, first 2 shown]
	ds_load_2addr_b64 v[46:49], v78 offset0:108 offset1:216
	v_mul_f64_e32 v[101:102], v[99:100], v[87:88]
	v_fma_f64 v[26:27], v[26:27], v[54:55], v[42:43]
	v_fma_f64 v[16:17], v[16:17], v[58:59], v[60:61]
	;; [unrolled: 1-line block ×4, first 2 shown]
	v_mul_f64_e32 v[62:63], v[10:11], v[83:84]
	v_mul_f64_e32 v[64:65], v[22:23], v[95:96]
	;; [unrolled: 1-line block ×3, first 2 shown]
	v_fma_f64 v[56:57], v[22:23], v[93:94], v[107:108]
	global_wb scope:SCOPE_SE
	s_wait_dscnt 0x0
	s_barrier_signal -1
	s_barrier_wait -1
	global_inv scope:SCOPE_SE
	v_mul_f64_e32 v[97:98], v[48:49], v[83:84]
	v_mul_f64_e32 v[72:73], v[46:47], v[72:73]
	v_fma_f64 v[38:39], v[46:47], v[70:71], -v[68:69]
	v_mul_f64_e32 v[68:69], v[18:19], v[91:92]
	v_fma_f64 v[46:47], v[18:19], v[89:90], v[105:106]
	v_add_f64_e32 v[12:13], v[34:35], v[30:31]
	v_add_f64_e32 v[60:61], v[36:37], v[28:29]
	v_add_f64_e64 v[83:84], v[34:35], -v[36:37]
	v_fma_f64 v[42:43], v[14:15], v[85:86], v[101:102]
	v_add_f64_e64 v[87:88], v[34:35], -v[30:31]
	v_add_f64_e64 v[22:23], v[16:17], -v[20:21]
	v_add_f64_e32 v[18:19], v[58:59], v[26:27]
	v_fma_f64 v[48:49], v[48:49], v[81:82], -v[62:63]
	v_add_f64_e64 v[101:102], v[20:21], -v[26:27]
	v_fma_f64 v[54:55], v[10:11], v[81:82], v[97:98]
	v_fma_f64 v[8:9], v[8:9], v[70:71], v[72:73]
	v_add_f64_e32 v[10:11], v[16:17], v[20:21]
	v_add_f64_e64 v[70:71], v[58:59], -v[26:27]
	v_fma_f64 v[14:15], v[103:104], v[89:90], -v[68:69]
	v_add_f64_e64 v[68:69], v[36:37], -v[34:35]
	v_add_f64_e64 v[81:82], v[28:29], -v[30:31]
	;; [unrolled: 1-line block ×5, first 2 shown]
	v_fma_f64 v[72:73], v[12:13], -0.5, v[38:39]
	v_fma_f64 v[60:61], v[60:61], -0.5, v[38:39]
	v_fma_f64 v[12:13], v[50:51], v[93:94], -v[64:65]
	v_fma_f64 v[50:51], v[99:100], v[85:86], -v[66:67]
	v_add_f64_e32 v[62:63], v[42:43], v[46:47]
	v_add_f64_e64 v[66:67], v[36:37], -v[28:29]
	v_add_f64_e64 v[85:86], v[30:31], -v[28:29]
	;; [unrolled: 1-line block ×3, first 2 shown]
	v_add_f64_e32 v[64:65], v[54:55], v[56:57]
	v_fma_f64 v[18:19], v[18:19], -0.5, v[8:9]
	v_fma_f64 v[10:11], v[10:11], -0.5, v[8:9]
	v_add_f64_e32 v[93:94], v[24:25], v[54:55]
	v_add_f64_e32 v[8:9], v[8:9], v[58:59]
	v_add_f64_e64 v[58:59], v[16:17], -v[58:59]
	v_add_f64_e64 v[107:108], v[42:43], -v[54:55]
	v_fma_f64 v[89:90], v[70:71], s[2:3], v[72:73]
	v_fma_f64 v[91:92], v[22:23], s[12:13], v[60:61]
	;; [unrolled: 1-line block ×4, first 2 shown]
	v_add_f64_e64 v[95:96], v[48:49], -v[12:13]
	v_fma_f64 v[62:63], v[62:63], -0.5, v[24:25]
	v_add_f64_e64 v[103:104], v[50:51], -v[14:15]
	v_fma_f64 v[24:25], v[64:65], -0.5, v[24:25]
	v_add_f64_e32 v[64:65], v[68:69], v[81:82]
	v_add_f64_e32 v[68:69], v[83:84], v[85:86]
	v_fma_f64 v[81:82], v[66:67], s[12:13], v[10:11]
	v_fma_f64 v[10:11], v[66:67], s[2:3], v[10:11]
	;; [unrolled: 1-line block ×4, first 2 shown]
	v_add_f64_e32 v[8:9], v[8:9], v[16:17]
	v_add_f64_e32 v[16:17], v[97:98], v[99:100]
	;; [unrolled: 1-line block ×4, first 2 shown]
	v_fma_f64 v[85:86], v[22:23], s[6:7], v[89:90]
	v_fma_f64 v[89:90], v[70:71], s[6:7], v[91:92]
	;; [unrolled: 1-line block ×4, first 2 shown]
	v_add_f64_e64 v[91:92], v[54:55], -v[42:43]
	v_fma_f64 v[58:59], v[95:96], s[12:13], v[62:63]
	v_fma_f64 v[99:100], v[95:96], s[2:3], v[62:63]
	;; [unrolled: 1-line block ×8, first 2 shown]
	v_add_f64_e32 v[8:9], v[8:9], v[20:21]
	v_add_f64_e32 v[87:88], v[93:94], v[46:47]
	v_fma_f64 v[72:73], v[64:65], s[16:17], v[85:86]
	v_fma_f64 v[70:71], v[68:69], s[16:17], v[89:90]
	;; [unrolled: 1-line block ×4, first 2 shown]
	v_add_f64_e32 v[22:23], v[91:92], v[105:106]
	v_fma_f64 v[20:21], v[103:104], s[14:15], v[58:59]
	v_add_f64_e32 v[85:86], v[107:108], v[109:110]
	v_fma_f64 v[89:90], v[103:104], s[6:7], v[99:100]
	v_fma_f64 v[91:92], v[95:96], s[14:15], v[101:102]
	;; [unrolled: 1-line block ×7, first 2 shown]
	v_add_f64_e32 v[8:9], v[8:9], v[26:27]
	v_add_f64_e32 v[83:84], v[87:88], v[56:57]
	v_mul_f64_e32 v[10:11], s[14:15], v[72:73]
	v_mul_f64_e32 v[16:17], s[12:13], v[70:71]
	;; [unrolled: 1-line block ×4, first 2 shown]
	v_fma_f64 v[20:21], v[22:23], s[16:17], v[20:21]
	v_fma_f64 v[22:23], v[22:23], s[16:17], v[89:90]
	;; [unrolled: 1-line block ×4, first 2 shown]
	v_add_f64_e32 v[85:86], v[83:84], v[8:9]
	v_add_f64_e64 v[83:84], v[83:84], -v[8:9]
	v_fma_f64 v[10:11], v[60:61], s[18:19], v[10:11]
	v_fma_f64 v[16:17], v[64:65], s[16:17], v[16:17]
	s_wait_alu 0xfffe
	v_fma_f64 v[18:19], v[66:67], s[20:21], v[18:19]
	v_fma_f64 v[81:82], v[58:59], s[22:23], v[81:82]
	s_delay_alu instid0(VALU_DEP_4) | instskip(NEXT) | instid1(VALU_DEP_4)
	v_add_f64_e32 v[87:88], v[20:21], v[10:11]
	v_add_f64_e32 v[89:90], v[26:27], v[16:17]
	s_delay_alu instid0(VALU_DEP_4) | instskip(NEXT) | instid1(VALU_DEP_4)
	v_add_f64_e32 v[91:92], v[24:25], v[18:19]
	v_add_f64_e32 v[93:94], v[22:23], v[81:82]
	v_add_f64_e64 v[8:9], v[20:21], -v[10:11]
	v_add_f64_e64 v[10:11], v[26:27], -v[16:17]
	;; [unrolled: 1-line block ×4, first 2 shown]
	v_and_b32_e32 v20, 0xffff, v40
	v_lshlrev_b32_e32 v21, 3, v41
	v_add_nc_u32_e32 v81, 0x400, v78
	s_delay_alu instid0(VALU_DEP_3) | instskip(NEXT) | instid1(VALU_DEP_1)
	v_mad_u32_u24 v20, 0x1e0, v20, 0
	v_add3_u32 v82, v20, v21, v80
	ds_store_2addr_b64 v82, v[85:86], v[87:88] offset1:6
	ds_store_2addr_b64 v82, v[89:90], v[91:92] offset0:12 offset1:18
	ds_store_2addr_b64 v82, v[93:94], v[83:84] offset0:24 offset1:30
	ds_store_2addr_b64 v82, v[8:9], v[10:11] offset0:36 offset1:42
	ds_store_2addr_b64 v82, v[16:17], v[18:19] offset0:48 offset1:54
	global_wb scope:SCOPE_SE
	s_wait_dscnt 0x0
	s_barrier_signal -1
	s_barrier_wait -1
	global_inv scope:SCOPE_SE
	ds_load_2addr_b64 v[20:23], v81 offset0:52 offset1:232
	ds_load_2addr_b64 v[24:27], v44 offset0:28 offset1:208
	ds_load_b64 v[40:41], v79
	ds_load_b64 v[44:45], v78 offset:7200
	s_and_saveexec_b32 s1, s0
	s_cbranch_execz .LBB0_19
; %bb.18:
	v_add_nc_u32_e32 v0, 0x200, v78
	v_add_nc_u32_e32 v1, 0xe00, v78
	;; [unrolled: 1-line block ×3, first 2 shown]
	ds_load_2addr_b64 v[8:11], v0 offset0:44 offset1:224
	ds_load_2addr_b64 v[16:19], v1 offset0:20 offset1:200
	;; [unrolled: 1-line block ×3, first 2 shown]
.LBB0_19:
	s_wait_alu 0xfffe
	s_or_b32 exec_lo, exec_lo, s1
	v_add_f64_e32 v[83:84], v[50:51], v[14:15]
	v_add_f64_e32 v[85:86], v[48:49], v[12:13]
	;; [unrolled: 1-line block ×3, first 2 shown]
	v_add_f64_e64 v[54:55], v[54:55], -v[56:57]
	v_add_f64_e32 v[36:37], v[38:39], v[36:37]
	v_add_f64_e64 v[38:39], v[42:43], -v[46:47]
	v_add_f64_e64 v[46:47], v[48:49], -v[50:51]
	;; [unrolled: 1-line block ×4, first 2 shown]
	v_mul_f64_e32 v[72:73], s[18:19], v[72:73]
	v_mul_f64_e32 v[70:71], s[16:17], v[70:71]
	v_mul_f64_e32 v[68:69], s[16:17], v[68:69]
	v_mul_f64_e32 v[62:63], s[18:19], v[62:63]
	global_wb scope:SCOPE_SE
	s_wait_dscnt 0x0
	s_barrier_signal -1
	s_barrier_wait -1
	global_inv scope:SCOPE_SE
	v_fma_f64 v[42:43], v[83:84], -0.5, v[32:33]
	v_fma_f64 v[32:33], v[85:86], -0.5, v[32:33]
	v_add_f64_e32 v[50:51], v[87:88], v[50:51]
	v_add_f64_e32 v[34:35], v[36:37], v[34:35]
	v_add_f64_e64 v[36:37], v[14:15], -v[12:13]
	v_add_f64_e32 v[46:47], v[46:47], v[56:57]
	v_fma_f64 v[83:84], v[54:55], s[2:3], v[42:43]
	v_fma_f64 v[85:86], v[38:39], s[12:13], v[32:33]
	v_fma_f64 v[32:33], v[38:39], s[2:3], v[32:33]
	v_fma_f64 v[42:43], v[54:55], s[12:13], v[42:43]
	v_add_f64_e32 v[14:15], v[50:51], v[14:15]
	v_add_f64_e32 v[30:31], v[34:35], v[30:31]
	;; [unrolled: 1-line block ×3, first 2 shown]
	v_fma_f64 v[50:51], v[64:65], s[2:3], v[70:71]
	v_fma_f64 v[36:37], v[38:39], s[6:7], v[83:84]
	;; [unrolled: 1-line block ×6, first 2 shown]
	v_add_f64_e32 v[12:13], v[14:15], v[12:13]
	v_add_f64_e32 v[14:15], v[30:31], v[28:29]
	v_fma_f64 v[54:55], v[66:67], s[2:3], -v[68:69]
	v_fma_f64 v[30:31], v[58:59], s[6:7], -v[62:63]
	v_fma_f64 v[28:29], v[46:47], s[16:17], v[36:37]
	v_fma_f64 v[36:37], v[34:35], s[16:17], v[48:49]
	;; [unrolled: 1-line block ×4, first 2 shown]
	v_add_f64_e32 v[38:39], v[12:13], v[14:15]
	v_add_f64_e64 v[46:47], v[12:13], -v[14:15]
	v_add_f64_e32 v[48:49], v[28:29], v[42:43]
	v_add_f64_e32 v[56:57], v[36:37], v[50:51]
	;; [unrolled: 1-line block ×4, first 2 shown]
	v_add_f64_e64 v[12:13], v[28:29], -v[42:43]
	v_add_f64_e64 v[14:15], v[36:37], -v[50:51]
	;; [unrolled: 1-line block ×4, first 2 shown]
	v_add_nc_u32_e32 v36, 0x1000, v78
	ds_store_2addr_b64 v82, v[38:39], v[48:49] offset1:6
	ds_store_2addr_b64 v82, v[56:57], v[58:59] offset0:12 offset1:18
	ds_store_2addr_b64 v82, v[60:61], v[46:47] offset0:24 offset1:30
	;; [unrolled: 1-line block ×4, first 2 shown]
	global_wb scope:SCOPE_SE
	s_wait_dscnt 0x0
	s_barrier_signal -1
	s_barrier_wait -1
	global_inv scope:SCOPE_SE
	ds_load_2addr_b64 v[32:35], v81 offset0:52 offset1:232
	ds_load_2addr_b64 v[36:39], v36 offset0:28 offset1:208
	ds_load_b64 v[42:43], v79
	ds_load_b64 v[46:47], v78 offset:7200
	s_and_saveexec_b32 s1, s0
	s_cbranch_execz .LBB0_21
; %bb.20:
	v_add_nc_u32_e32 v4, 0x200, v78
	v_add_nc_u32_e32 v5, 0xe00, v78
	;; [unrolled: 1-line block ×3, first 2 shown]
	ds_load_2addr_b64 v[12:15], v4 offset0:44 offset1:224
	ds_load_2addr_b64 v[28:31], v5 offset0:20 offset1:200
	;; [unrolled: 1-line block ×3, first 2 shown]
.LBB0_21:
	s_wait_alu 0xfffe
	s_or_b32 exec_lo, exec_lo, s1
	v_dual_mov_b32 v49, 0 :: v_dual_and_b32 v48, 0xff, v77
	v_cmp_gt_u32_e64 s1, 60, v74
	s_mov_b32 s2, 0xe8584caa
	s_mov_b32 s3, 0xbfebb67a
	s_delay_alu instid0(VALU_DEP_2) | instskip(SKIP_3) | instid1(VALU_DEP_1)
	v_mul_lo_u16 v48, 0x89, v48
	s_mov_b32 s7, 0x3febb67a
	s_wait_alu 0xfffe
	s_mov_b32 s6, s2
	v_lshrrev_b16 v109, 13, v48
	v_subrev_nc_u32_e32 v48, 60, v74
	s_delay_alu instid0(VALU_DEP_2) | instskip(NEXT) | instid1(VALU_DEP_2)
	v_mul_lo_u16 v50, v109, 60
	v_cndmask_b32_e64 v110, v48, v74, s1
	s_delay_alu instid0(VALU_DEP_2) | instskip(NEXT) | instid1(VALU_DEP_2)
	v_sub_nc_u16 v50, v77, v50
	v_mul_i32_i24_e32 v48, 5, v110
	s_delay_alu instid0(VALU_DEP_2) | instskip(NEXT) | instid1(VALU_DEP_2)
	v_and_b32_e32 v111, 0xff, v50
	v_lshlrev_b64_e32 v[48:49], 4, v[48:49]
	s_delay_alu instid0(VALU_DEP_2) | instskip(NEXT) | instid1(VALU_DEP_2)
	v_mul_u32_u24_e32 v50, 5, v111
	v_add_co_u32 v48, s1, s4, v48
	s_wait_alu 0xf1ff
	s_delay_alu instid0(VALU_DEP_3) | instskip(NEXT) | instid1(VALU_DEP_3)
	v_add_co_ci_u32_e64 v49, s1, s5, v49, s1
	v_lshlrev_b32_e32 v50, 4, v50
	v_cmp_lt_u32_e64 s1, 59, v74
	s_clause 0x9
	global_load_b128 v[54:57], v[48:49], off offset:896
	global_load_b128 v[58:61], v[48:49], off offset:928
	global_load_b128 v[62:65], v50, s[4:5] offset:896
	global_load_b128 v[66:69], v50, s[4:5] offset:928
	global_load_b128 v[70:73], v[48:49], off offset:864
	global_load_b128 v[81:84], v50, s[4:5] offset:864
	global_load_b128 v[85:88], v[48:49], off offset:880
	global_load_b128 v[89:92], v[48:49], off offset:912
	global_load_b128 v[93:96], v50, s[4:5] offset:880
	global_load_b128 v[97:100], v50, s[4:5] offset:912
	global_wb scope:SCOPE_SE
	s_wait_loadcnt_dscnt 0x0
	s_barrier_signal -1
	s_barrier_wait -1
	global_inv scope:SCOPE_SE
	v_mul_f64_e32 v[48:49], v[24:25], v[56:57]
	v_mul_f64_e32 v[50:51], v[44:45], v[60:61]
	;; [unrolled: 1-line block ×8, first 2 shown]
	v_fma_f64 v[48:49], v[36:37], v[54:55], -v[48:49]
	v_fma_f64 v[46:47], v[46:47], v[58:59], -v[50:51]
	v_mul_f64_e32 v[36:37], v[30:31], v[64:65]
	v_mul_f64_e32 v[50:51], v[6:7], v[68:69]
	v_fma_f64 v[30:31], v[30:31], v[62:63], -v[101:102]
	v_fma_f64 v[6:7], v[6:7], v[66:67], -v[103:104]
	v_mul_f64_e32 v[64:65], v[32:33], v[72:73]
	v_mul_f64_e32 v[68:69], v[34:35], v[87:88]
	;; [unrolled: 1-line block ×3, first 2 shown]
	v_fma_f64 v[44:45], v[44:45], v[58:59], v[60:61]
	v_mul_f64_e32 v[58:59], v[14:15], v[83:84]
	v_mul_f64_e32 v[60:61], v[28:29], v[95:96]
	;; [unrolled: 1-line block ×3, first 2 shown]
	v_fma_f64 v[101:102], v[24:25], v[54:55], v[56:57]
	v_fma_f64 v[24:25], v[32:33], v[70:71], -v[105:106]
	v_fma_f64 v[32:33], v[14:15], v[81:82], -v[107:108]
	v_add_f64_e32 v[103:104], v[48:49], v[46:47]
	v_fma_f64 v[18:19], v[18:19], v[62:63], v[36:37]
	v_fma_f64 v[2:3], v[2:3], v[66:67], v[50:51]
	v_mul_f64_e32 v[36:37], v[22:23], v[87:88]
	v_add_f64_e32 v[14:15], v[30:31], v[6:7]
	v_mul_f64_e32 v[50:51], v[26:27], v[91:92]
	v_mul_f64_e32 v[62:63], v[16:17], v[95:96]
	;; [unrolled: 1-line block ×3, first 2 shown]
	v_fma_f64 v[20:21], v[20:21], v[70:71], v[64:65]
	v_fma_f64 v[54:55], v[22:23], v[85:86], v[68:69]
	v_fma_f64 v[56:57], v[26:27], v[89:90], v[72:73]
	v_fma_f64 v[22:23], v[16:17], v[93:94], v[60:61]
	v_fma_f64 v[26:27], v[0:1], v[97:98], v[83:84]
	v_add_f64_e32 v[0:1], v[101:102], v[44:45]
	v_add_f64_e64 v[16:17], v[101:102], -v[44:45]
	v_fma_f64 v[10:11], v[10:11], v[81:82], v[58:59]
	v_add_f64_e64 v[81:82], v[30:31], -v[6:7]
	v_fma_f64 v[60:61], v[103:104], -0.5, v[24:25]
	v_add_f64_e32 v[58:59], v[18:19], v[2:3]
	v_add_f64_e64 v[68:69], v[18:19], -v[2:3]
	v_fma_f64 v[14:15], v[14:15], -0.5, v[32:33]
	v_fma_f64 v[64:65], v[34:35], v[85:86], -v[36:37]
	v_fma_f64 v[50:51], v[38:39], v[89:90], -v[50:51]
	;; [unrolled: 1-line block ×4, first 2 shown]
	v_add_f64_e64 v[36:37], v[48:49], -v[46:47]
	v_add_f64_e32 v[34:35], v[54:55], v[56:57]
	v_add_f64_e32 v[85:86], v[8:9], v[22:23]
	;; [unrolled: 1-line block ×3, first 2 shown]
	v_fma_f64 v[0:1], v[0:1], -0.5, v[20:21]
	v_add_f64_e32 v[20:21], v[20:21], v[101:102]
	s_wait_alu 0xfffe
	v_fma_f64 v[70:71], v[16:17], s[6:7], v[60:61]
	v_fma_f64 v[72:73], v[16:17], s[2:3], v[60:61]
	v_fma_f64 v[16:17], v[58:59], -0.5, v[10:11]
	v_add_f64_e32 v[10:11], v[10:11], v[18:19]
	v_fma_f64 v[62:63], v[68:69], s[6:7], v[14:15]
	v_fma_f64 v[60:61], v[68:69], s[2:3], v[14:15]
	v_add_f64_e32 v[14:15], v[40:41], v[54:55]
	v_add_f64_e64 v[83:84], v[64:65], -v[50:51]
	v_add_f64_e64 v[87:88], v[28:29], -v[4:5]
	v_fma_f64 v[18:19], v[34:35], -0.5, v[40:41]
	v_fma_f64 v[8:9], v[38:39], -0.5, v[8:9]
	v_fma_f64 v[66:67], v[36:37], s[2:3], v[0:1]
	v_fma_f64 v[68:69], v[36:37], s[6:7], v[0:1]
	v_add_f64_e32 v[20:21], v[20:21], v[44:45]
	v_add_f64_e32 v[0:1], v[85:86], v[26:27]
	v_mul_f64_e32 v[34:35], s[2:3], v[70:71]
	v_mul_f64_e32 v[36:37], s[2:3], v[72:73]
	v_fma_f64 v[40:41], v[81:82], s[2:3], v[16:17]
	v_fma_f64 v[58:59], v[81:82], s[6:7], v[16:17]
	v_mul_f64_e32 v[16:17], s[2:3], v[62:63]
	v_mul_f64_e32 v[38:39], s[2:3], v[60:61]
	v_add_f64_e32 v[81:82], v[14:15], v[56:57]
	v_add_f64_e32 v[2:3], v[10:11], v[2:3]
	v_fma_f64 v[44:45], v[83:84], s[2:3], v[18:19]
	v_fma_f64 v[18:19], v[83:84], s[6:7], v[18:19]
	;; [unrolled: 1-line block ×4, first 2 shown]
	v_fma_f64 v[83:84], v[66:67], 0.5, v[34:35]
	v_fma_f64 v[36:37], v[68:69], -0.5, v[36:37]
	v_fma_f64 v[16:17], v[40:41], 0.5, v[16:17]
	v_fma_f64 v[14:15], v[58:59], -0.5, v[38:39]
	v_add_f64_e32 v[85:86], v[81:82], v[20:21]
	v_add_f64_e64 v[34:35], v[0:1], -v[2:3]
	v_add_f64_e64 v[20:21], v[81:82], -v[20:21]
	s_wait_alu 0xf1ff
	v_cndmask_b32_e64 v81, 0, 0xb40, s1
	v_lshlrev_b32_e32 v82, 3, v110
	s_delay_alu instid0(VALU_DEP_2)
	v_add_nc_u32_e32 v81, 0, v81
	v_add_f64_e32 v[87:88], v[44:45], v[83:84]
	v_add_f64_e32 v[89:90], v[18:19], v[36:37]
	v_add_f64_e64 v[18:19], v[18:19], -v[36:37]
	v_add_f64_e64 v[44:45], v[44:45], -v[83:84]
	;; [unrolled: 1-line block ×4, first 2 shown]
	v_add3_u32 v83, v81, v82, v80
	v_and_b32_e32 v81, 0xffff, v109
	v_lshlrev_b32_e32 v82, 3, v111
	s_delay_alu instid0(VALU_DEP_3)
	v_add_nc_u32_e32 v84, 0x400, v83
	ds_store_2addr_b64 v83, v[85:86], v[87:88] offset1:60
	ds_store_2addr_b64 v83, v[89:90], v[20:21] offset0:120 offset1:180
	ds_store_2addr_b64 v84, v[44:45], v[18:19] offset0:112 offset1:172
	s_and_saveexec_b32 s1, s0
	s_cbranch_execz .LBB0_23
; %bb.22:
	v_add_f64_e32 v[10:11], v[10:11], v[16:17]
	v_add_f64_e32 v[0:1], v[0:1], v[2:3]
	;; [unrolled: 1-line block ×3, first 2 shown]
	v_mad_u32_u24 v8, 0xb40, v81, 0
	s_delay_alu instid0(VALU_DEP_1) | instskip(NEXT) | instid1(VALU_DEP_1)
	v_add3_u32 v8, v8, v82, v80
	v_add_nc_u32_e32 v9, 0x400, v8
	ds_store_2addr_b64 v8, v[0:1], v[10:11] offset1:60
	ds_store_2addr_b64 v8, v[2:3], v[34:35] offset0:120 offset1:180
	ds_store_2addr_b64 v9, v[36:37], v[38:39] offset0:112 offset1:172
.LBB0_23:
	s_wait_alu 0xfffe
	s_or_b32 exec_lo, exec_lo, s1
	v_add_nc_u32_e32 v0, 0x800, v78
	v_add_nc_u32_e32 v1, 0x1000, v78
	;; [unrolled: 1-line block ×3, first 2 shown]
	global_wb scope:SCOPE_SE
	s_wait_dscnt 0x0
	s_barrier_signal -1
	s_barrier_wait -1
	global_inv scope:SCOPE_SE
	ds_load_b64 v[44:45], v79
	ds_load_2addr_b64 v[8:11], v0 offset0:104 offset1:212
	ds_load_2addr_b64 v[18:21], v1 offset0:64 offset1:208
	;; [unrolled: 1-line block ×4, first 2 shown]
	v_cmp_gt_u32_e64 s1, 36, v74
	s_delay_alu instid0(VALU_DEP_1)
	s_and_saveexec_b32 s2, s1
	s_cbranch_execz .LBB0_25
; %bb.24:
	ds_load_b64 v[34:35], v78 offset:2592
	ds_load_b64 v[36:37], v78 offset:5472
	;; [unrolled: 1-line block ×3, first 2 shown]
.LBB0_25:
	s_wait_alu 0xfffe
	s_or_b32 exec_lo, exec_lo, s2
	v_add_f64_e32 v[84:85], v[64:65], v[50:51]
	v_add_f64_e32 v[86:87], v[28:29], v[4:5]
	;; [unrolled: 1-line block ×3, first 2 shown]
	v_add_f64_e64 v[54:55], v[54:55], -v[56:57]
	v_add_f64_e32 v[24:25], v[24:25], v[48:49]
	v_mul_f64_e32 v[48:49], 0.5, v[70:71]
	v_add_f64_e32 v[28:29], v[12:13], v[28:29]
	v_add_f64_e32 v[30:31], v[32:33], v[30:31]
	v_mul_f64_e32 v[56:57], -0.5, v[72:73]
	s_mov_b32 s2, 0xe8584caa
	s_mov_b32 s3, 0x3febb67a
	;; [unrolled: 1-line block ×3, first 2 shown]
	s_wait_alu 0xfffe
	s_mov_b32 s6, s2
	global_wb scope:SCOPE_SE
	s_wait_dscnt 0x0
	s_barrier_signal -1
	s_barrier_wait -1
	global_inv scope:SCOPE_SE
	v_fma_f64 v[32:33], v[84:85], -0.5, v[42:43]
	v_add_f64_e64 v[42:43], v[22:23], -v[26:27]
	v_mul_f64_e32 v[22:23], 0.5, v[62:63]
	v_mul_f64_e32 v[26:27], -0.5, v[60:61]
	v_fma_f64 v[12:13], v[86:87], -0.5, v[12:13]
	v_add_f64_e32 v[50:51], v[64:65], v[50:51]
	v_add_f64_e32 v[46:47], v[24:25], v[46:47]
	v_fma_f64 v[48:49], v[66:67], s[2:3], v[48:49]
	v_add_f64_e32 v[4:5], v[28:29], v[4:5]
	v_add_f64_e32 v[6:7], v[30:31], v[6:7]
	v_fma_f64 v[56:57], v[68:69], s[2:3], v[56:57]
	v_fma_f64 v[30:31], v[54:55], s[2:3], v[32:33]
	s_wait_alu 0xfffe
	v_fma_f64 v[32:33], v[54:55], s[6:7], v[32:33]
	v_fma_f64 v[22:23], v[40:41], s[2:3], v[22:23]
	;; [unrolled: 1-line block ×5, first 2 shown]
	v_add_f64_e32 v[54:55], v[50:51], v[46:47]
	v_add_f64_e64 v[46:47], v[50:51], -v[46:47]
	v_add_f64_e64 v[12:13], v[4:5], -v[6:7]
	v_add_f64_e32 v[50:51], v[30:31], v[48:49]
	v_add_f64_e32 v[58:59], v[32:33], v[56:57]
	v_add_f64_e64 v[30:31], v[30:31], -v[48:49]
	v_add_f64_e64 v[32:33], v[32:33], -v[56:57]
	;; [unrolled: 1-line block ×4, first 2 shown]
	v_add_nc_u32_e32 v48, 0x400, v83
	ds_store_2addr_b64 v83, v[54:55], v[50:51] offset1:60
	ds_store_2addr_b64 v83, v[58:59], v[46:47] offset0:120 offset1:180
	ds_store_2addr_b64 v48, v[30:31], v[32:33] offset0:112 offset1:172
	s_and_saveexec_b32 s2, s0
	s_cbranch_execz .LBB0_27
; %bb.26:
	v_add_f64_e32 v[4:5], v[4:5], v[6:7]
	v_add_f64_e32 v[6:7], v[26:27], v[22:23]
	;; [unrolled: 1-line block ×3, first 2 shown]
	v_mad_u32_u24 v24, 0xb40, v81, 0
	s_delay_alu instid0(VALU_DEP_1) | instskip(NEXT) | instid1(VALU_DEP_1)
	v_add3_u32 v24, v24, v82, v80
	v_add_nc_u32_e32 v25, 0x400, v24
	ds_store_2addr_b64 v24, v[4:5], v[6:7] offset1:60
	ds_store_2addr_b64 v24, v[22:23], v[12:13] offset0:120 offset1:180
	ds_store_2addr_b64 v25, v[40:41], v[42:43] offset0:112 offset1:172
.LBB0_27:
	s_wait_alu 0xfffe
	s_or_b32 exec_lo, exec_lo, s2
	v_add_nc_u32_e32 v4, 0x800, v78
	v_add_nc_u32_e32 v5, 0x1000, v78
	;; [unrolled: 1-line block ×3, first 2 shown]
	global_wb scope:SCOPE_SE
	s_wait_dscnt 0x0
	s_barrier_signal -1
	s_barrier_wait -1
	global_inv scope:SCOPE_SE
	ds_load_b64 v[48:49], v79
	ds_load_2addr_b64 v[22:25], v4 offset0:104 offset1:212
	ds_load_2addr_b64 v[26:29], v5 offset0:64 offset1:208
	;; [unrolled: 1-line block ×4, first 2 shown]
	s_and_saveexec_b32 s0, s1
	s_cbranch_execz .LBB0_29
; %bb.28:
	ds_load_b64 v[12:13], v78 offset:2592
	ds_load_b64 v[40:41], v78 offset:5472
	;; [unrolled: 1-line block ×3, first 2 shown]
.LBB0_29:
	s_wait_alu 0xfffe
	s_or_b32 exec_lo, exec_lo, s0
	s_and_saveexec_b32 s0, vcc_lo
	s_cbranch_execz .LBB0_32
; %bb.30:
	v_dual_mov_b32 v47, 0 :: v_dual_add_nc_u32 v94, 0xd8, v74
	v_mad_co_u64_u32 v[92:93], null, s8, v74, 0
	s_mov_b32 s2, 0xe8584caa
	s_delay_alu instid0(VALU_DEP_2)
	v_lshlrev_b32_e32 v46, 1, v94
	s_mov_b32 s3, 0xbfebb67a
	s_mov_b32 s7, 0x3febb67a
	s_wait_alu 0xfffe
	s_mov_b32 s6, s2
	v_lshlrev_b64_e32 v[50:51], 4, v[46:47]
	v_lshlrev_b32_e32 v46, 1, v77
	s_delay_alu instid0(VALU_DEP_1) | instskip(SKIP_1) | instid1(VALU_DEP_4)
	v_lshlrev_b64_e32 v[54:55], 4, v[46:47]
	v_lshlrev_b32_e32 v46, 1, v74
	v_add_co_u32 v50, vcc_lo, s4, v50
	s_wait_alu 0xfffd
	v_add_co_ci_u32_e32 v51, vcc_lo, s5, v51, vcc_lo
	s_delay_alu instid0(VALU_DEP_3) | instskip(SKIP_4) | instid1(VALU_DEP_4)
	v_lshlrev_b64_e32 v[56:57], 4, v[46:47]
	v_add_co_u32 v66, vcc_lo, s4, v54
	s_wait_alu 0xfffd
	v_add_co_ci_u32_e32 v67, vcc_lo, s5, v55, vcc_lo
	v_mov_b32_e32 v46, v93
	v_add_co_u32 v78, vcc_lo, s4, v56
	s_wait_alu 0xfffd
	v_add_co_ci_u32_e32 v79, vcc_lo, s5, v57, vcc_lo
	s_clause 0x5
	global_load_b128 v[54:57], v[50:51], off offset:5664
	global_load_b128 v[58:61], v[50:51], off offset:5680
	global_load_b128 v[62:65], v[66:67], off offset:5664
	global_load_b128 v[66:69], v[66:67], off offset:5680
	global_load_b128 v[70:73], v[78:79], off offset:5664
	global_load_b128 v[78:81], v[78:79], off offset:5680
	s_wait_loadcnt 0x5
	v_mul_f64_e32 v[50:51], v[18:19], v[56:57]
	s_wait_loadcnt 0x4
	v_mul_f64_e32 v[82:83], v[16:17], v[60:61]
	;; [unrolled: 2-line block ×6, first 2 shown]
	s_wait_dscnt 0x3
	v_mul_f64_e32 v[72:73], v[22:23], v[72:73]
	s_wait_dscnt 0x2
	v_mul_f64_e32 v[80:81], v[28:29], v[80:81]
	v_mul_f64_e32 v[64:65], v[24:25], v[64:65]
	s_wait_dscnt 0x0
	v_mul_f64_e32 v[68:69], v[30:31], v[68:69]
	v_mul_f64_e32 v[56:57], v[26:27], v[56:57]
	;; [unrolled: 1-line block ×3, first 2 shown]
	v_fma_f64 v[26:27], v[26:27], v[54:55], -v[50:51]
	v_fma_f64 v[32:33], v[32:33], v[58:59], -v[82:83]
	;; [unrolled: 1-line block ×6, first 2 shown]
	v_fma_f64 v[50:51], v[8:9], v[70:71], v[72:73]
	v_fma_f64 v[20:21], v[20:21], v[78:79], v[80:81]
	;; [unrolled: 1-line block ×4, first 2 shown]
	v_add_co_u32 v8, vcc_lo, s10, v52
	s_wait_alu 0xfffd
	v_add_co_ci_u32_e32 v9, vcc_lo, s11, v53, vcc_lo
	v_mad_co_u64_u32 v[52:53], null, s8, v75, 0
	v_fma_f64 v[18:19], v[18:19], v[54:55], v[56:57]
	v_fma_f64 v[16:17], v[16:17], v[58:59], v[60:61]
	v_mad_co_u64_u32 v[54:55], null, s8, v76, 0
	v_mad_co_u64_u32 v[56:57], null, s8, v77, 0
	v_add_nc_u32_e32 v79, 0x33c, v74
	v_lshrrev_b32_e32 v62, 3, v94
	s_delay_alu instid0(VALU_DEP_2) | instskip(NEXT) | instid1(VALU_DEP_2)
	v_mad_co_u64_u32 v[60:61], null, s8, v79, 0
	v_mul_hi_u32 v80, 0x16c16c17, v62
	v_mad_co_u64_u32 v[62:63], null, s9, v74, v[46:47]
	v_mad_co_u64_u32 v[63:64], null, s9, v75, v[53:54]
	;; [unrolled: 1-line block ×3, first 2 shown]
	v_dual_mov_b32 v53, v61 :: v_dual_add_nc_u32 v78, 0x1d4, v74
	v_add_f64_e32 v[81:82], v[6:7], v[26:27]
	v_mov_b32_e32 v93, v62
	v_add_f64_e32 v[85:86], v[4:5], v[24:25]
	v_add_f64_e32 v[68:69], v[24:25], v[30:31]
	v_mov_b32_e32 v55, v64
	v_mad_co_u64_u32 v[58:59], null, s8, v78, 0
	v_add_f64_e32 v[70:71], v[22:23], v[28:29]
	v_add_f64_e32 v[72:73], v[50:51], v[20:21]
	v_add_f64_e64 v[83:84], v[10:11], -v[14:15]
	v_add_f64_e64 v[87:88], v[50:51], -v[20:21]
	v_add_f64_e32 v[89:90], v[48:49], v[22:23]
	v_add_f64_e32 v[50:51], v[44:45], v[50:51]
	v_mad_co_u64_u32 v[65:66], null, s9, v77, v[57:58]
	v_mov_b32_e32 v46, v59
	v_add_f64_e32 v[66:67], v[26:27], v[32:33]
	v_add_f64_e64 v[22:23], v[22:23], -v[28:29]
	s_delay_alu instid0(VALU_DEP_4) | instskip(NEXT) | instid1(VALU_DEP_4)
	v_mov_b32_e32 v57, v65
	v_mad_co_u64_u32 v[75:76], null, s9, v78, v[46:47]
	v_mad_co_u64_u32 v[76:77], null, s9, v79, v[53:54]
	v_add_f64_e32 v[77:78], v[10:11], v[14:15]
	v_lshrrev_b32_e32 v46, 2, v80
	v_add_f64_e32 v[79:80], v[18:19], v[16:17]
	v_add_f64_e32 v[10:11], v[0:1], v[10:11]
	v_mov_b32_e32 v53, v63
	v_lshlrev_b64_e32 v[62:63], 4, v[92:93]
	v_mad_u32_u24 v46, 0x2d0, v46, v94
	v_mov_b32_e32 v59, v75
	v_lshlrev_b64_e32 v[54:55], 4, v[54:55]
	v_lshlrev_b64_e32 v[52:53], 4, v[52:53]
	v_lshlrev_b64_e32 v[56:57], 4, v[56:57]
	v_add_nc_u32_e32 v102, 0x2d0, v46
	v_mad_co_u64_u32 v[64:65], null, s8, v46, 0
	v_mov_b32_e32 v61, v76
	v_add_f64_e64 v[75:76], v[18:19], -v[16:17]
	v_add_f64_e32 v[18:19], v[2:3], v[18:19]
	v_fma_f64 v[68:69], v[68:69], -0.5, v[4:5]
	v_add_nc_u32_e32 v101, 0x168, v46
	v_fma_f64 v[48:49], v[70:71], -0.5, v[48:49]
	v_fma_f64 v[44:45], v[72:73], -0.5, v[44:45]
	v_add_f64_e64 v[70:71], v[24:25], -v[30:31]
	v_add_co_u32 v62, vcc_lo, v8, v62
	v_mad_co_u64_u32 v[95:96], null, s8, v101, 0
	s_wait_alu 0xfffd
	v_add_co_ci_u32_e32 v63, vcc_lo, v9, v63, vcc_lo
	v_fma_f64 v[66:67], v[66:67], -0.5, v[6:7]
	v_add_co_u32 v91, vcc_lo, v8, v52
	s_wait_alu 0xfffd
	v_add_co_ci_u32_e32 v92, vcc_lo, v9, v53, vcc_lo
	v_add_co_u32 v93, vcc_lo, v8, v54
	v_add_f64_e32 v[6:7], v[85:86], v[30:31]
	v_mad_co_u64_u32 v[97:98], null, s8, v102, 0
	v_fma_f64 v[72:73], v[77:78], -0.5, v[0:1]
	v_add_f64_e64 v[77:78], v[26:27], -v[32:33]
	v_fma_f64 v[79:80], v[79:80], -0.5, v[2:3]
	v_mov_b32_e32 v0, v65
	v_add_f64_e32 v[4:5], v[10:11], v[14:15]
	v_add_f64_e32 v[14:15], v[50:51], v[20:21]
	;; [unrolled: 1-line block ×3, first 2 shown]
	s_wait_alu 0xfffd
	v_add_co_ci_u32_e32 v94, vcc_lo, v9, v55, vcc_lo
	v_mad_co_u64_u32 v[99:100], null, s9, v46, v[0:1]
	v_mov_b32_e32 v46, v96
	v_lshlrev_b64_e32 v[58:59], 4, v[58:59]
	v_lshlrev_b64_e32 v[60:61], 4, v[60:61]
	v_add_co_u32 v56, vcc_lo, v8, v56
	v_add_f64_e32 v[0:1], v[18:19], v[16:17]
	v_add_f64_e32 v[16:17], v[89:90], v[28:29]
	s_wait_alu 0xfffe
	v_fma_f64 v[54:55], v[83:84], s[6:7], v[68:69]
	v_fma_f64 v[32:33], v[87:88], s[2:3], v[48:49]
	;; [unrolled: 1-line block ×6, first 2 shown]
	v_mad_co_u64_u32 v[10:11], null, s9, v101, v[46:47]
	v_mov_b32_e32 v65, v98
	s_wait_alu 0xfffd
	v_add_co_ci_u32_e32 v57, vcc_lo, v9, v57, vcc_lo
	v_fma_f64 v[24:25], v[75:76], s[6:7], v[66:67]
	v_fma_f64 v[20:21], v[75:76], s[2:3], v[66:67]
	v_mov_b32_e32 v96, v10
	v_mad_co_u64_u32 v[44:45], null, s9, v102, v[65:66]
	v_mov_b32_e32 v65, v99
	v_add_co_u32 v45, vcc_lo, v8, v58
	v_fma_f64 v[52:53], v[70:71], s[2:3], v[72:73]
	v_fma_f64 v[26:27], v[70:71], s[6:7], v[72:73]
	v_fma_f64 v[22:23], v[77:78], s[2:3], v[79:80]
	v_mov_b32_e32 v98, v44
	v_fma_f64 v[18:19], v[77:78], s[6:7], v[79:80]
	s_wait_alu 0xfffd
	v_add_co_ci_u32_e32 v46, vcc_lo, v9, v59, vcc_lo
	v_lshlrev_b64_e32 v[58:59], 4, v[64:65]
	v_add_co_u32 v10, vcc_lo, v8, v60
	s_wait_alu 0xfffd
	v_add_co_ci_u32_e32 v11, vcc_lo, v9, v61, vcc_lo
	v_lshlrev_b64_e32 v[60:61], 4, v[95:96]
	v_lshlrev_b64_e32 v[64:65], 4, v[97:98]
	v_add_co_u32 v58, vcc_lo, v8, v58
	s_wait_alu 0xfffd
	v_add_co_ci_u32_e32 v59, vcc_lo, v9, v59, vcc_lo
	s_delay_alu instid0(VALU_DEP_4)
	v_add_co_u32 v60, vcc_lo, v8, v60
	s_wait_alu 0xfffd
	v_add_co_ci_u32_e32 v61, vcc_lo, v9, v61, vcc_lo
	v_add_co_u32 v64, vcc_lo, v8, v64
	s_wait_alu 0xfffd
	v_add_co_ci_u32_e32 v65, vcc_lo, v9, v65, vcc_lo
	s_clause 0x8
	global_store_b128 v[62:63], v[14:17], off
	global_store_b128 v[91:92], v[48:51], off
	;; [unrolled: 1-line block ×9, first 2 shown]
	s_and_b32 exec_lo, exec_lo, s1
	s_cbranch_execz .LBB0_32
; %bb.31:
	v_add_nc_u32_e32 v32, 0x144, v74
	v_subrev_nc_u32_e32 v0, 36, v74
	v_add_nc_u32_e32 v33, 0x2ac, v74
	s_delay_alu instid0(VALU_DEP_2) | instskip(NEXT) | instid1(VALU_DEP_2)
	v_cndmask_b32_e64 v0, v0, v32, s1
	v_mad_co_u64_u32 v[28:29], null, s8, v33, 0
	s_delay_alu instid0(VALU_DEP_2) | instskip(NEXT) | instid1(VALU_DEP_1)
	v_lshlrev_b32_e32 v46, 1, v0
	v_lshlrev_b64_e32 v[0:1], 4, v[46:47]
	s_delay_alu instid0(VALU_DEP_1) | instskip(SKIP_1) | instid1(VALU_DEP_2)
	v_add_co_u32 v4, vcc_lo, s4, v0
	s_wait_alu 0xfffd
	v_add_co_ci_u32_e32 v5, vcc_lo, s5, v1, vcc_lo
	s_clause 0x1
	global_load_b128 v[0:3], v[4:5], off offset:5664
	global_load_b128 v[4:7], v[4:5], off offset:5680
	s_wait_loadcnt 0x1
	v_mul_f64_e32 v[10:11], v[40:41], v[2:3]
	s_wait_loadcnt 0x0
	v_mul_f64_e32 v[14:15], v[42:43], v[6:7]
	v_mul_f64_e32 v[2:3], v[36:37], v[2:3]
	;; [unrolled: 1-line block ×3, first 2 shown]
	s_delay_alu instid0(VALU_DEP_4) | instskip(NEXT) | instid1(VALU_DEP_4)
	v_fma_f64 v[10:11], v[36:37], v[0:1], v[10:11]
	v_fma_f64 v[14:15], v[38:39], v[4:5], v[14:15]
	s_delay_alu instid0(VALU_DEP_4) | instskip(NEXT) | instid1(VALU_DEP_4)
	v_fma_f64 v[0:1], v[40:41], v[0:1], -v[2:3]
	v_fma_f64 v[2:3], v[42:43], v[4:5], -v[6:7]
	s_delay_alu instid0(VALU_DEP_4) | instskip(NEXT) | instid1(VALU_DEP_4)
	v_add_f64_e32 v[16:17], v[34:35], v[10:11]
	v_add_f64_e32 v[4:5], v[10:11], v[14:15]
	s_delay_alu instid0(VALU_DEP_4) | instskip(NEXT) | instid1(VALU_DEP_4)
	v_add_f64_e32 v[20:21], v[12:13], v[0:1]
	v_add_f64_e32 v[6:7], v[0:1], v[2:3]
	v_add_f64_e64 v[18:19], v[0:1], -v[2:3]
	v_add_f64_e64 v[24:25], v[10:11], -v[14:15]
	v_add_f64_e32 v[0:1], v[16:17], v[14:15]
	v_fma_f64 v[22:23], v[4:5], -0.5, v[34:35]
	v_add_nc_u32_e32 v34, 0x414, v74
	v_fma_f64 v[12:13], v[6:7], -0.5, v[12:13]
	v_add_f64_e32 v[2:3], v[20:21], v[2:3]
	v_mov_b32_e32 v14, v29
	s_delay_alu instid0(VALU_DEP_4) | instskip(NEXT) | instid1(VALU_DEP_1)
	v_mad_co_u64_u32 v[30:31], null, s8, v34, 0
	v_mov_b32_e32 v15, v31
	v_mad_co_u64_u32 v[26:27], null, s8, v32, 0
	s_delay_alu instid0(VALU_DEP_1) | instskip(NEXT) | instid1(VALU_DEP_1)
	v_mad_co_u64_u32 v[16:17], null, s9, v32, v[27:28]
	v_mov_b32_e32 v27, v16
	v_fma_f64 v[4:5], v[18:19], s[2:3], v[22:23]
	v_fma_f64 v[10:11], v[18:19], s[6:7], v[22:23]
	;; [unrolled: 1-line block ×4, first 2 shown]
	v_mad_co_u64_u32 v[17:18], null, s9, v33, v[14:15]
	s_delay_alu instid0(VALU_DEP_1) | instskip(SKIP_1) | instid1(VALU_DEP_2)
	v_mov_b32_e32 v29, v17
	v_mad_co_u64_u32 v[14:15], null, s9, v34, v[15:16]
	v_lshlrev_b64_e32 v[16:17], 4, v[28:29]
	s_delay_alu instid0(VALU_DEP_2) | instskip(SKIP_1) | instid1(VALU_DEP_2)
	v_mov_b32_e32 v31, v14
	v_lshlrev_b64_e32 v[14:15], 4, v[26:27]
	v_lshlrev_b64_e32 v[18:19], 4, v[30:31]
	s_delay_alu instid0(VALU_DEP_2) | instskip(SKIP_1) | instid1(VALU_DEP_3)
	v_add_co_u32 v14, vcc_lo, v8, v14
	s_wait_alu 0xfffd
	v_add_co_ci_u32_e32 v15, vcc_lo, v9, v15, vcc_lo
	v_add_co_u32 v16, vcc_lo, v8, v16
	s_wait_alu 0xfffd
	v_add_co_ci_u32_e32 v17, vcc_lo, v9, v17, vcc_lo
	;; [unrolled: 3-line block ×3, first 2 shown]
	s_clause 0x2
	global_store_b128 v[14:15], v[0:3], off
	global_store_b128 v[16:17], v[4:7], off
	;; [unrolled: 1-line block ×3, first 2 shown]
.LBB0_32:
	s_nop 0
	s_sendmsg sendmsg(MSG_DEALLOC_VGPRS)
	s_endpgm
	.section	.rodata,"a",@progbits
	.p2align	6, 0x0
	.amdhsa_kernel fft_rtc_back_len1080_factors_6_10_6_3_wgs_216_tpt_108_halfLds_dp_ip_CI_sbrr_dirReg
		.amdhsa_group_segment_fixed_size 0
		.amdhsa_private_segment_fixed_size 0
		.amdhsa_kernarg_size 88
		.amdhsa_user_sgpr_count 2
		.amdhsa_user_sgpr_dispatch_ptr 0
		.amdhsa_user_sgpr_queue_ptr 0
		.amdhsa_user_sgpr_kernarg_segment_ptr 1
		.amdhsa_user_sgpr_dispatch_id 0
		.amdhsa_user_sgpr_private_segment_size 0
		.amdhsa_wavefront_size32 1
		.amdhsa_uses_dynamic_stack 0
		.amdhsa_enable_private_segment 0
		.amdhsa_system_sgpr_workgroup_id_x 1
		.amdhsa_system_sgpr_workgroup_id_y 0
		.amdhsa_system_sgpr_workgroup_id_z 0
		.amdhsa_system_sgpr_workgroup_info 0
		.amdhsa_system_vgpr_workitem_id 0
		.amdhsa_next_free_vgpr 112
		.amdhsa_next_free_sgpr 35
		.amdhsa_reserve_vcc 1
		.amdhsa_float_round_mode_32 0
		.amdhsa_float_round_mode_16_64 0
		.amdhsa_float_denorm_mode_32 3
		.amdhsa_float_denorm_mode_16_64 3
		.amdhsa_fp16_overflow 0
		.amdhsa_workgroup_processor_mode 1
		.amdhsa_memory_ordered 1
		.amdhsa_forward_progress 0
		.amdhsa_round_robin_scheduling 0
		.amdhsa_exception_fp_ieee_invalid_op 0
		.amdhsa_exception_fp_denorm_src 0
		.amdhsa_exception_fp_ieee_div_zero 0
		.amdhsa_exception_fp_ieee_overflow 0
		.amdhsa_exception_fp_ieee_underflow 0
		.amdhsa_exception_fp_ieee_inexact 0
		.amdhsa_exception_int_div_zero 0
	.end_amdhsa_kernel
	.text
.Lfunc_end0:
	.size	fft_rtc_back_len1080_factors_6_10_6_3_wgs_216_tpt_108_halfLds_dp_ip_CI_sbrr_dirReg, .Lfunc_end0-fft_rtc_back_len1080_factors_6_10_6_3_wgs_216_tpt_108_halfLds_dp_ip_CI_sbrr_dirReg
                                        ; -- End function
	.section	.AMDGPU.csdata,"",@progbits
; Kernel info:
; codeLenInByte = 8868
; NumSgprs: 37
; NumVgprs: 112
; ScratchSize: 0
; MemoryBound: 1
; FloatMode: 240
; IeeeMode: 1
; LDSByteSize: 0 bytes/workgroup (compile time only)
; SGPRBlocks: 4
; VGPRBlocks: 13
; NumSGPRsForWavesPerEU: 37
; NumVGPRsForWavesPerEU: 112
; Occupancy: 12
; WaveLimiterHint : 1
; COMPUTE_PGM_RSRC2:SCRATCH_EN: 0
; COMPUTE_PGM_RSRC2:USER_SGPR: 2
; COMPUTE_PGM_RSRC2:TRAP_HANDLER: 0
; COMPUTE_PGM_RSRC2:TGID_X_EN: 1
; COMPUTE_PGM_RSRC2:TGID_Y_EN: 0
; COMPUTE_PGM_RSRC2:TGID_Z_EN: 0
; COMPUTE_PGM_RSRC2:TIDIG_COMP_CNT: 0
	.text
	.p2alignl 7, 3214868480
	.fill 96, 4, 3214868480
	.type	__hip_cuid_e8e2dc069b3678f7,@object ; @__hip_cuid_e8e2dc069b3678f7
	.section	.bss,"aw",@nobits
	.globl	__hip_cuid_e8e2dc069b3678f7
__hip_cuid_e8e2dc069b3678f7:
	.byte	0                               ; 0x0
	.size	__hip_cuid_e8e2dc069b3678f7, 1

	.ident	"AMD clang version 19.0.0git (https://github.com/RadeonOpenCompute/llvm-project roc-6.4.0 25133 c7fe45cf4b819c5991fe208aaa96edf142730f1d)"
	.section	".note.GNU-stack","",@progbits
	.addrsig
	.addrsig_sym __hip_cuid_e8e2dc069b3678f7
	.amdgpu_metadata
---
amdhsa.kernels:
  - .args:
      - .actual_access:  read_only
        .address_space:  global
        .offset:         0
        .size:           8
        .value_kind:     global_buffer
      - .offset:         8
        .size:           8
        .value_kind:     by_value
      - .actual_access:  read_only
        .address_space:  global
        .offset:         16
        .size:           8
        .value_kind:     global_buffer
      - .actual_access:  read_only
        .address_space:  global
        .offset:         24
        .size:           8
        .value_kind:     global_buffer
      - .offset:         32
        .size:           8
        .value_kind:     by_value
      - .actual_access:  read_only
        .address_space:  global
        .offset:         40
        .size:           8
        .value_kind:     global_buffer
      - .actual_access:  read_only
        .address_space:  global
        .offset:         48
        .size:           8
        .value_kind:     global_buffer
      - .offset:         56
        .size:           4
        .value_kind:     by_value
      - .actual_access:  read_only
        .address_space:  global
        .offset:         64
        .size:           8
        .value_kind:     global_buffer
      - .actual_access:  read_only
        .address_space:  global
        .offset:         72
        .size:           8
        .value_kind:     global_buffer
      - .address_space:  global
        .offset:         80
        .size:           8
        .value_kind:     global_buffer
    .group_segment_fixed_size: 0
    .kernarg_segment_align: 8
    .kernarg_segment_size: 88
    .language:       OpenCL C
    .language_version:
      - 2
      - 0
    .max_flat_workgroup_size: 216
    .name:           fft_rtc_back_len1080_factors_6_10_6_3_wgs_216_tpt_108_halfLds_dp_ip_CI_sbrr_dirReg
    .private_segment_fixed_size: 0
    .sgpr_count:     37
    .sgpr_spill_count: 0
    .symbol:         fft_rtc_back_len1080_factors_6_10_6_3_wgs_216_tpt_108_halfLds_dp_ip_CI_sbrr_dirReg.kd
    .uniform_work_group_size: 1
    .uses_dynamic_stack: false
    .vgpr_count:     112
    .vgpr_spill_count: 0
    .wavefront_size: 32
    .workgroup_processor_mode: 1
amdhsa.target:   amdgcn-amd-amdhsa--gfx1201
amdhsa.version:
  - 1
  - 2
...

	.end_amdgpu_metadata
